;; amdgpu-corpus repo=ROCm/rocFFT kind=compiled arch=gfx950 opt=O3
	.text
	.amdgcn_target "amdgcn-amd-amdhsa--gfx950"
	.amdhsa_code_object_version 6
	.protected	fft_rtc_fwd_len220_factors_10_2_11_wgs_110_tpt_22_sp_ip_CI_unitstride_sbrr_dirReg ; -- Begin function fft_rtc_fwd_len220_factors_10_2_11_wgs_110_tpt_22_sp_ip_CI_unitstride_sbrr_dirReg
	.globl	fft_rtc_fwd_len220_factors_10_2_11_wgs_110_tpt_22_sp_ip_CI_unitstride_sbrr_dirReg
	.p2align	8
	.type	fft_rtc_fwd_len220_factors_10_2_11_wgs_110_tpt_22_sp_ip_CI_unitstride_sbrr_dirReg,@function
fft_rtc_fwd_len220_factors_10_2_11_wgs_110_tpt_22_sp_ip_CI_unitstride_sbrr_dirReg: ; @fft_rtc_fwd_len220_factors_10_2_11_wgs_110_tpt_22_sp_ip_CI_unitstride_sbrr_dirReg
; %bb.0:
	s_load_dwordx2 s[8:9], s[0:1], 0x50
	s_load_dwordx4 s[4:7], s[0:1], 0x0
	s_load_dwordx2 s[10:11], s[0:1], 0x18
	v_mul_u32_u24_e32 v1, 0xba3, v0
	v_lshrrev_b32_e32 v2, 16, v1
	v_mad_u64_u32 v[2:3], s[2:3], s2, 5, v[2:3]
	v_mov_b32_e32 v6, 0
	v_mov_b32_e32 v3, v6
	s_waitcnt lgkmcnt(0)
	v_cmp_lt_u64_e64 s[2:3], s[6:7], 2
	s_and_b64 vcc, exec, s[2:3]
	v_mov_b64_e32 v[4:5], 0
	v_mov_b64_e32 v[10:11], v[2:3]
	s_cbranch_vccnz .LBB0_8
; %bb.1:
	s_load_dwordx2 s[2:3], s[0:1], 0x10
	s_add_u32 s12, s10, 8
	s_addc_u32 s13, s11, 0
	s_mov_b64 s[14:15], 1
	v_mov_b64_e32 v[4:5], 0
	s_waitcnt lgkmcnt(0)
	s_add_u32 s16, s2, 8
	s_addc_u32 s17, s3, 0
	v_mov_b64_e32 v[8:9], v[2:3]
.LBB0_2:                                ; =>This Inner Loop Header: Depth=1
	s_load_dwordx2 s[18:19], s[16:17], 0x0
                                        ; implicit-def: $vgpr10_vgpr11
	s_waitcnt lgkmcnt(0)
	v_or_b32_e32 v7, s19, v9
	v_cmp_ne_u64_e32 vcc, 0, v[6:7]
	s_and_saveexec_b64 s[2:3], vcc
	s_xor_b64 s[20:21], exec, s[2:3]
	s_cbranch_execz .LBB0_4
; %bb.3:                                ;   in Loop: Header=BB0_2 Depth=1
	v_cvt_f32_u32_e32 v1, s18
	v_cvt_f32_u32_e32 v3, s19
	s_sub_u32 s2, 0, s18
	s_subb_u32 s3, 0, s19
	v_fmac_f32_e32 v1, 0x4f800000, v3
	v_rcp_f32_e32 v1, v1
	s_nop 0
	v_mul_f32_e32 v1, 0x5f7ffffc, v1
	v_mul_f32_e32 v3, 0x2f800000, v1
	v_trunc_f32_e32 v3, v3
	v_fmac_f32_e32 v1, 0xcf800000, v3
	v_cvt_u32_f32_e32 v3, v3
	v_cvt_u32_f32_e32 v1, v1
	v_mul_lo_u32 v7, s2, v3
	v_mul_hi_u32 v10, s2, v1
	v_mul_lo_u32 v11, s3, v1
	v_add_u32_e32 v7, v10, v7
	v_mul_lo_u32 v14, s2, v1
	v_add_u32_e32 v7, v7, v11
	v_mul_hi_u32 v10, v1, v14
	v_mul_hi_u32 v13, v1, v7
	v_mul_lo_u32 v12, v1, v7
	v_mov_b32_e32 v11, v6
	v_lshl_add_u64 v[10:11], v[10:11], 0, v[12:13]
	v_mul_hi_u32 v13, v3, v14
	v_mul_lo_u32 v14, v3, v14
	v_add_co_u32_e32 v10, vcc, v10, v14
	v_mul_hi_u32 v12, v3, v7
	s_nop 0
	v_addc_co_u32_e32 v10, vcc, v11, v13, vcc
	v_mov_b32_e32 v11, v6
	s_nop 0
	v_addc_co_u32_e32 v13, vcc, 0, v12, vcc
	v_mul_lo_u32 v12, v3, v7
	v_lshl_add_u64 v[10:11], v[10:11], 0, v[12:13]
	v_add_co_u32_e32 v1, vcc, v1, v10
	v_mul_hi_u32 v10, s2, v1
	s_nop 0
	v_addc_co_u32_e32 v3, vcc, v3, v11, vcc
	v_mul_lo_u32 v7, s2, v3
	v_add_u32_e32 v7, v10, v7
	v_mul_lo_u32 v10, s3, v1
	v_add_u32_e32 v7, v7, v10
	v_mul_lo_u32 v12, s2, v1
	v_mul_hi_u32 v15, v3, v12
	v_mul_lo_u32 v16, v3, v12
	v_mul_hi_u32 v11, v1, v7
	;; [unrolled: 2-line block ×3, first 2 shown]
	v_mov_b32_e32 v13, v6
	v_lshl_add_u64 v[10:11], v[12:13], 0, v[10:11]
	v_add_co_u32_e32 v10, vcc, v10, v16
	v_mul_hi_u32 v14, v3, v7
	s_nop 0
	v_addc_co_u32_e32 v10, vcc, v11, v15, vcc
	v_mul_lo_u32 v12, v3, v7
	s_nop 0
	v_addc_co_u32_e32 v13, vcc, 0, v14, vcc
	v_mov_b32_e32 v11, v6
	v_lshl_add_u64 v[10:11], v[10:11], 0, v[12:13]
	v_add_co_u32_e32 v1, vcc, v1, v10
	v_mul_hi_u32 v12, v8, v1
	s_nop 0
	v_addc_co_u32_e32 v3, vcc, v3, v11, vcc
	v_mad_u64_u32 v[10:11], s[2:3], v8, v3, 0
	v_mov_b32_e32 v13, v6
	v_lshl_add_u64 v[10:11], v[12:13], 0, v[10:11]
	v_mad_u64_u32 v[14:15], s[2:3], v9, v1, 0
	v_add_co_u32_e32 v1, vcc, v10, v14
	v_mad_u64_u32 v[12:13], s[2:3], v9, v3, 0
	s_nop 0
	v_addc_co_u32_e32 v10, vcc, v11, v15, vcc
	v_mov_b32_e32 v11, v6
	s_nop 0
	v_addc_co_u32_e32 v13, vcc, 0, v13, vcc
	v_lshl_add_u64 v[10:11], v[10:11], 0, v[12:13]
	v_mul_lo_u32 v1, s19, v10
	v_mul_lo_u32 v3, s18, v11
	v_mad_u64_u32 v[12:13], s[2:3], s18, v10, 0
	v_add3_u32 v1, v13, v3, v1
	v_sub_u32_e32 v3, v9, v1
	v_mov_b32_e32 v7, s19
	v_sub_co_u32_e32 v16, vcc, v8, v12
	v_lshl_add_u64 v[14:15], v[10:11], 0, 1
	s_nop 0
	v_subb_co_u32_e64 v3, s[2:3], v3, v7, vcc
	v_subrev_co_u32_e64 v7, s[2:3], s18, v16
	v_subb_co_u32_e32 v1, vcc, v9, v1, vcc
	s_nop 0
	v_subbrev_co_u32_e64 v3, s[2:3], 0, v3, s[2:3]
	v_cmp_le_u32_e64 s[2:3], s19, v3
	v_cmp_le_u32_e32 vcc, s19, v1
	s_nop 0
	v_cndmask_b32_e64 v12, 0, -1, s[2:3]
	v_cmp_le_u32_e64 s[2:3], s18, v7
	s_nop 1
	v_cndmask_b32_e64 v7, 0, -1, s[2:3]
	v_cmp_eq_u32_e64 s[2:3], s19, v3
	s_nop 1
	v_cndmask_b32_e64 v3, v12, v7, s[2:3]
	v_lshl_add_u64 v[12:13], v[10:11], 0, 2
	v_cmp_ne_u32_e64 s[2:3], 0, v3
	v_cndmask_b32_e64 v7, 0, -1, vcc
	v_cmp_le_u32_e32 vcc, s18, v16
	v_cndmask_b32_e64 v3, v15, v13, s[2:3]
	s_nop 0
	v_cndmask_b32_e64 v13, 0, -1, vcc
	v_cmp_eq_u32_e32 vcc, s19, v1
	s_nop 1
	v_cndmask_b32_e32 v1, v7, v13, vcc
	v_cmp_ne_u32_e32 vcc, 0, v1
	v_cndmask_b32_e64 v1, v14, v12, s[2:3]
	s_nop 0
	v_cndmask_b32_e32 v11, v11, v3, vcc
	v_cndmask_b32_e32 v10, v10, v1, vcc
.LBB0_4:                                ;   in Loop: Header=BB0_2 Depth=1
	s_andn2_saveexec_b64 s[2:3], s[20:21]
	s_cbranch_execz .LBB0_6
; %bb.5:                                ;   in Loop: Header=BB0_2 Depth=1
	v_cvt_f32_u32_e32 v1, s18
	s_sub_i32 s20, 0, s18
	v_mov_b32_e32 v11, v6
	v_rcp_iflag_f32_e32 v1, v1
	s_nop 0
	v_mul_f32_e32 v1, 0x4f7ffffe, v1
	v_cvt_u32_f32_e32 v1, v1
	v_mul_lo_u32 v3, s20, v1
	v_mul_hi_u32 v3, v1, v3
	v_add_u32_e32 v1, v1, v3
	v_mul_hi_u32 v1, v8, v1
	v_mul_lo_u32 v3, v1, s18
	v_sub_u32_e32 v3, v8, v3
	v_add_u32_e32 v7, 1, v1
	v_subrev_u32_e32 v10, s18, v3
	v_cmp_le_u32_e32 vcc, s18, v3
	s_nop 1
	v_cndmask_b32_e32 v3, v3, v10, vcc
	v_cndmask_b32_e32 v1, v1, v7, vcc
	v_add_u32_e32 v7, 1, v1
	v_cmp_le_u32_e32 vcc, s18, v3
	s_nop 1
	v_cndmask_b32_e32 v10, v1, v7, vcc
.LBB0_6:                                ;   in Loop: Header=BB0_2 Depth=1
	s_or_b64 exec, exec, s[2:3]
	v_mad_u64_u32 v[12:13], s[2:3], v10, s18, 0
	s_load_dwordx2 s[2:3], s[12:13], 0x0
	s_add_u32 s14, s14, 1
	v_mul_lo_u32 v1, v11, s18
	v_mul_lo_u32 v3, v10, s19
	s_addc_u32 s15, s15, 0
	v_add3_u32 v1, v13, v3, v1
	v_sub_co_u32_e32 v3, vcc, v8, v12
	s_add_u32 s12, s12, 8
	s_nop 0
	v_subb_co_u32_e32 v1, vcc, v9, v1, vcc
	s_addc_u32 s13, s13, 0
	v_mov_b64_e32 v[8:9], s[6:7]
	s_waitcnt lgkmcnt(0)
	v_mul_lo_u32 v1, s2, v1
	v_mul_lo_u32 v7, s3, v3
	v_mad_u64_u32 v[4:5], s[2:3], s2, v3, v[4:5]
	s_add_u32 s16, s16, 8
	v_cmp_ge_u64_e32 vcc, s[14:15], v[8:9]
	v_add3_u32 v5, v7, v5, v1
	s_addc_u32 s17, s17, 0
	s_cbranch_vccnz .LBB0_8
; %bb.7:                                ;   in Loop: Header=BB0_2 Depth=1
	v_mov_b64_e32 v[8:9], v[10:11]
	s_branch .LBB0_2
.LBB0_8:
	s_lshl_b64 s[2:3], s[6:7], 3
	s_add_u32 s2, s10, s2
	s_addc_u32 s3, s11, s3
	s_load_dwordx2 s[6:7], s[2:3], 0x0
	s_load_dwordx2 s[10:11], s[0:1], 0x20
                                        ; implicit-def: $vgpr6
                                        ; implicit-def: $vgpr8
                                        ; implicit-def: $vgpr16
                                        ; implicit-def: $vgpr12
                                        ; implicit-def: $vgpr14
                                        ; implicit-def: $vgpr18
                                        ; implicit-def: $vgpr24
	s_waitcnt lgkmcnt(0)
	v_mad_u64_u32 v[4:5], s[0:1], s6, v10, v[4:5]
	v_mul_lo_u32 v1, s6, v11
	v_mul_lo_u32 v3, s7, v10
	s_mov_b32 s0, 0xba2e8bb
	v_add3_u32 v5, v3, v5, v1
	v_mul_hi_u32 v1, v0, s0
	v_mul_u32_u24_e32 v1, 22, v1
	v_cmp_gt_u64_e32 vcc, s[10:11], v[10:11]
	v_sub_u32_e32 v20, v0, v1
	v_lshl_add_u64 v[22:23], v[4:5], 3, s[8:9]
                                        ; implicit-def: $vgpr0
                                        ; implicit-def: $vgpr4
                                        ; implicit-def: $vgpr10
	s_and_saveexec_b64 s[0:1], vcc
	s_cbranch_execz .LBB0_10
; %bb.9:
	v_mov_b32_e32 v21, 0
	v_lshl_add_u64 v[26:27], v[20:21], 3, v[22:23]
	global_load_dwordx2 v[12:13], v[26:27], off
	global_load_dwordx2 v[0:1], v[26:27], off offset:176
	global_load_dwordx2 v[14:15], v[26:27], off offset:352
	;; [unrolled: 1-line block ×9, first 2 shown]
.LBB0_10:
	s_or_b64 exec, exec, s[0:1]
	s_mov_b32 s0, 0xcccccccd
	v_mul_hi_u32 v3, v2, s0
	v_lshrrev_b32_e32 v3, 2, v3
	v_lshl_add_u32 v3, v3, 2, v3
	v_sub_u32_e32 v2, v2, v3
	v_mul_u32_u24_e32 v28, 0xdc, v2
	s_waitcnt vmcnt(7)
	v_pk_add_f32 v[2:3], v[12:13], v[14:15]
	s_waitcnt vmcnt(3)
	v_pk_add_f32 v[30:31], v[18:19], v[24:25]
	s_waitcnt vmcnt(1)
	v_pk_add_f32 v[32:33], v[14:15], v[16:17] neg_lo:[0,1] neg_hi:[0,1]
	s_mov_b32 s2, 0x3f737871
	v_pk_add_f32 v[2:3], v[2:3], v[18:19]
	v_pk_fma_f32 v[30:31], v[30:31], 0.5, v[12:13] op_sel_hi:[1,0,1] neg_lo:[1,0,0] neg_hi:[1,0,0]
	v_pk_mul_f32 v[34:35], v[32:33], s[2:3] op_sel_hi:[1,0]
	v_pk_add_f32 v[36:37], v[18:19], v[24:25] neg_lo:[0,1] neg_hi:[0,1]
	s_mov_b32 s0, 0x3f167918
	v_pk_add_f32 v[40:41], v[14:15], v[18:19] neg_lo:[0,1] neg_hi:[0,1]
	v_pk_add_f32 v[42:43], v[16:17], v[24:25] neg_lo:[0,1] neg_hi:[0,1]
	v_pk_add_f32 v[2:3], v[2:3], v[24:25]
	v_pk_mul_f32 v[38:39], v[36:37], s[0:1] op_sel_hi:[1,0]
	v_pk_add_f32 v[40:41], v[40:41], v[42:43]
	v_pk_add_f32 v[42:43], v[30:31], v[34:35] op_sel:[0,1] op_sel_hi:[1,0]
	v_pk_add_f32 v[2:3], v[16:17], v[2:3]
	v_pk_add_f32 v[30:31], v[30:31], v[34:35] op_sel:[0,1] op_sel_hi:[1,0] neg_lo:[0,1] neg_hi:[0,1]
	v_pk_add_f32 v[34:35], v[42:43], v[38:39] op_sel:[0,1] op_sel_hi:[1,0]
	v_pk_add_f32 v[42:43], v[14:15], v[16:17]
	v_pk_add_f32 v[14:15], v[18:19], v[14:15] neg_lo:[0,1] neg_hi:[0,1]
	v_pk_add_f32 v[16:17], v[24:25], v[16:17] neg_lo:[0,1] neg_hi:[0,1]
	;; [unrolled: 1-line block ×3, first 2 shown]
	s_waitcnt vmcnt(0)
	v_pk_add_f32 v[24:25], v[4:5], v[6:7]
	v_pk_fma_f32 v[12:13], v[42:43], 0.5, v[12:13] op_sel_hi:[1,0,1] neg_lo:[1,0,0] neg_hi:[1,0,0]
	v_pk_add_f32 v[14:15], v[14:15], v[16:17]
	v_pk_add_f32 v[16:17], v[4:5], v[6:7] neg_lo:[0,1] neg_hi:[0,1]
	v_pk_fma_f32 v[24:25], v[24:25], 0.5, v[0:1] op_sel_hi:[1,0,1] neg_lo:[1,0,0] neg_hi:[1,0,0]
	v_pk_mul_f32 v[42:43], v[18:19], s[2:3] op_sel_hi:[1,0]
	v_pk_add_f32 v[46:47], v[8:9], v[4:5] neg_lo:[0,1] neg_hi:[0,1]
	v_pk_add_f32 v[48:49], v[10:11], v[6:7] neg_lo:[0,1] neg_hi:[0,1]
	v_pk_mul_f32 v[44:45], v[16:17], s[0:1] op_sel_hi:[1,0]
	v_pk_add_f32 v[46:47], v[46:47], v[48:49]
	v_pk_add_f32 v[48:49], v[24:25], v[42:43] op_sel:[0,1] op_sel_hi:[1,0] neg_lo:[0,1] neg_hi:[0,1]
	v_pk_add_f32 v[24:25], v[24:25], v[42:43] op_sel:[0,1] op_sel_hi:[1,0]
	v_pk_add_f32 v[42:43], v[48:49], v[44:45] op_sel:[0,1] op_sel_hi:[1,0]
	v_pk_add_f32 v[24:25], v[24:25], v[44:45] op_sel:[0,1] op_sel_hi:[1,0] neg_lo:[0,1] neg_hi:[0,1]
	s_mov_b32 s6, 0x3e9e377a
	v_mov_b32_e32 v44, v42
	v_mov_b32_e32 v45, v25
	v_pk_fma_f32 v[44:45], v[46:47], s[6:7], v[44:45] op_sel_hi:[1,0,1]
	v_pk_mul_f32 v[36:37], v[36:37], s[2:3] op_sel_hi:[1,0]
	v_pk_mul_f32 v[48:49], v[44:45], s[2:3] op_sel_hi:[1,0]
	;; [unrolled: 1-line block ×3, first 2 shown]
	v_pk_fma_f32 v[50:51], v[44:45], s[6:7], v[48:49] op_sel:[0,0,1] op_sel_hi:[1,0,0]
	v_pk_fma_f32 v[44:45], v[44:45], s[6:7], v[48:49] op_sel:[0,0,1] op_sel_hi:[1,0,0] neg_lo:[0,0,1] neg_hi:[0,0,1]
	v_mov_b32_e32 v25, v43
	v_mov_b32_e32 v51, v45
	v_pk_add_f32 v[44:45], v[12:13], v[36:37] op_sel:[0,1] op_sel_hi:[1,0] neg_lo:[0,1] neg_hi:[0,1]
	v_pk_add_f32 v[12:13], v[12:13], v[36:37] op_sel:[0,1] op_sel_hi:[1,0]
	v_pk_fma_f32 v[24:25], v[46:47], s[6:7], v[24:25] op_sel_hi:[1,0,1]
	v_pk_add_f32 v[12:13], v[12:13], v[32:33] op_sel:[0,1] op_sel_hi:[1,0] neg_lo:[0,1] neg_hi:[0,1]
	v_pk_add_f32 v[32:33], v[44:45], v[32:33] op_sel:[0,1] op_sel_hi:[1,0]
	v_lshlrev_b32_e32 v52, 3, v28
	v_mov_b32_e32 v36, v32
	v_mov_b32_e32 v37, v13
	s_mov_b32 s8, 0xbf737871
	s_mov_b32 s9, s2
	v_pk_mul_f32 v[42:43], v[24:25], s[6:7] op_sel_hi:[1,0]
	v_mov_b32_e32 v13, v33
	v_mul_u32_u24_e32 v21, 10, v20
	v_add_u32_e32 v53, 0, v52
	v_pk_fma_f32 v[36:37], v[14:15], s[6:7], v[36:37] op_sel_hi:[1,0,1]
	v_pk_fma_f32 v[24:25], v[24:25], s[8:9], v[42:43] op_sel:[0,0,1] op_sel_hi:[1,1,0] neg_lo:[0,0,1] neg_hi:[0,0,1]
	v_pk_fma_f32 v[12:13], v[14:15], s[6:7], v[12:13] op_sel_hi:[1,0,1]
	v_pk_add_f32 v[26:27], v[0:1], v[4:5]
	v_lshl_add_u32 v54, v21, 3, v53
	v_pk_add_f32 v[44:45], v[36:37], v[50:51]
	v_pk_add_f32 v[14:15], v[12:13], v[24:25] op_sel:[0,1] op_sel_hi:[1,0]
	v_pk_add_f32 v[26:27], v[26:27], v[8:9]
	ds_write2_b64 v54, v[44:45], v[14:15] offset0:2 offset1:3
	v_pk_add_f32 v[14:15], v[8:9], v[10:11]
	v_pk_add_f32 v[26:27], v[26:27], v[10:11]
	v_pk_fma_f32 v[0:1], v[14:15], 0.5, v[0:1] op_sel_hi:[1,0,1] neg_lo:[1,0,0] neg_hi:[1,0,0]
	v_pk_add_f32 v[4:5], v[4:5], v[8:9] neg_lo:[0,1] neg_hi:[0,1]
	v_pk_mul_f32 v[8:9], v[16:17], s[2:3] op_sel_hi:[1,0]
	v_pk_add_f32 v[26:27], v[6:7], v[26:27]
	v_pk_add_f32 v[6:7], v[6:7], v[10:11] neg_lo:[0,1] neg_hi:[0,1]
	v_pk_add_f32 v[10:11], v[8:9], v[0:1] op_sel:[1,0] op_sel_hi:[0,1]
	v_pk_mul_f32 v[14:15], v[18:19], s[0:1] op_sel_hi:[1,0]
	v_pk_add_f32 v[0:1], v[0:1], v[8:9] op_sel:[0,1] op_sel_hi:[1,0] neg_lo:[0,1] neg_hi:[0,1]
	v_pk_add_f32 v[30:31], v[30:31], v[38:39] op_sel:[0,1] op_sel_hi:[1,0] neg_lo:[0,1] neg_hi:[0,1]
	v_pk_add_f32 v[4:5], v[4:5], v[6:7]
	v_pk_add_f32 v[10:11], v[14:15], v[10:11] op_sel:[1,0] op_sel_hi:[0,1]
	v_pk_add_f32 v[0:1], v[0:1], v[14:15] op_sel:[0,1] op_sel_hi:[1,0] neg_lo:[0,1] neg_hi:[0,1]
	v_mov_b32_e32 v38, v34
	v_mov_b32_e32 v39, v31
	;; [unrolled: 1-line block ×3, first 2 shown]
	v_pk_fma_f32 v[8:9], v[4:5], s[6:7], v[0:1] op_sel_hi:[1,0,1]
	v_mov_b32_e32 v1, v11
	v_pk_fma_f32 v[38:39], v[40:41], s[6:7], v[38:39] op_sel_hi:[1,0,1]
	v_pk_fma_f32 v[6:7], v[40:41], s[6:7], v[30:31] op_sel_hi:[1,0,1]
	;; [unrolled: 1-line block ×4, first 2 shown]
	s_mov_b32 s6, 0x3f4f1bbd
	s_mov_b32 s2, 0xbf167918
	;; [unrolled: 1-line block ×3, first 2 shown]
	v_pk_mul_f32 v[4:5], v[0:1], s[6:7] op_sel_hi:[1,0]
	s_mov_b32 s7, s0
	v_pk_fma_f32 v[0:1], v[0:1], s[2:3], v[4:5] op_sel:[0,0,1] op_sel_hi:[1,1,0] neg_lo:[0,0,1] neg_hi:[0,0,1]
	v_pk_mul_f32 v[4:5], v[16:17], s[6:7] op_sel_hi:[0,1]
	s_mov_b32 s1, s6
	v_pk_fma_f32 v[10:11], v[8:9], s[0:1], v[4:5] op_sel:[1,0,0]
	v_pk_fma_f32 v[4:5], v[8:9], s[0:1], v[4:5] op_sel:[1,0,0] neg_lo:[0,0,1] neg_hi:[0,0,1]
	v_pk_add_f32 v[28:29], v[26:27], v[2:3]
	v_mov_b32_e32 v11, v5
	v_pk_add_f32 v[4:5], v[38:39], v[10:11]
	v_pk_add_f32 v[8:9], v[6:7], v[0:1] op_sel:[1,0] op_sel_hi:[0,1]
	ds_write2_b64 v54, v[28:29], v[4:5] offset1:1
	v_pk_add_f32 v[2:3], v[2:3], v[26:27] neg_lo:[0,1] neg_hi:[0,1]
	v_mov_b32_e32 v4, v9
	v_mov_b32_e32 v5, v8
	ds_write2_b64 v54, v[4:5], v[2:3] offset0:4 offset1:5
	v_pk_add_f32 v[2:3], v[38:39], v[10:11] neg_lo:[0,1] neg_hi:[0,1]
	v_pk_add_f32 v[4:5], v[36:37], v[50:51] neg_lo:[0,1] neg_hi:[0,1]
	v_pk_add_f32 v[0:1], v[6:7], v[0:1] op_sel:[1,0] op_sel_hi:[0,1] neg_lo:[0,1] neg_hi:[0,1]
	ds_write2_b64 v54, v[2:3], v[4:5] offset0:6 offset1:7
	v_pk_add_f32 v[2:3], v[12:13], v[24:25] op_sel:[0,1] op_sel_hi:[1,0] neg_lo:[0,1] neg_hi:[0,1]
	v_mov_b32_e32 v4, v1
	v_mov_b32_e32 v5, v0
	ds_write2_b64 v54, v[2:3], v[4:5] offset0:8 offset1:9
	s_movk_i32 s0, 0xcd
	v_add_u16_e32 v3, 0x58, v20
	v_mul_lo_u16_sdwa v0, v20, s0 dst_sel:DWORD dst_unused:UNUSED_PAD src0_sel:BYTE_0 src1_sel:DWORD
	v_mul_lo_u16_sdwa v4, v3, s0 dst_sel:DWORD dst_unused:UNUSED_PAD src0_sel:BYTE_0 src1_sel:DWORD
	v_lshrrev_b16_e32 v5, 11, v0
	v_lshrrev_b16_e32 v28, 11, v4
	v_mul_lo_u16_e32 v0, 10, v5
	v_mul_lo_u16_e32 v4, 10, v28
	v_sub_u16_e32 v0, v20, v0
	v_mov_b32_e32 v1, 3
	v_add_u16_e32 v2, 0x42, v20
	v_sub_u16_e32 v3, v3, v4
	v_lshlrev_b32_sdwa v19, v1, v0 dst_sel:DWORD dst_unused:UNUSED_PAD src0_sel:DWORD src1_sel:BYTE_0
	v_lshlrev_b32_sdwa v29, v1, v3 dst_sel:DWORD dst_unused:UNUSED_PAD src0_sel:DWORD src1_sel:BYTE_0
	v_mul_lo_u16_sdwa v3, v2, s0 dst_sel:DWORD dst_unused:UNUSED_PAD src0_sel:BYTE_0 src1_sel:DWORD
	s_waitcnt lgkmcnt(0)
	s_barrier
	global_load_dwordx2 v[10:11], v19, s[4:5]
	global_load_dwordx2 v[14:15], v29, s[4:5]
	v_lshrrev_b16_e32 v30, 11, v3
	v_mul_lo_u16_e32 v3, 10, v30
	v_sub_u16_e32 v2, v2, v3
	v_lshlrev_b32_sdwa v31, v1, v2 dst_sel:DWORD dst_unused:UNUSED_PAD src0_sel:DWORD src1_sel:BYTE_0
	global_load_dwordx2 v[24:25], v31, s[4:5]
	v_add_u16_e32 v2, 44, v20
	v_mul_lo_u16_sdwa v3, v2, s0 dst_sel:DWORD dst_unused:UNUSED_PAD src0_sel:BYTE_0 src1_sel:DWORD
	v_lshrrev_b16_e32 v38, 11, v3
	v_mul_lo_u16_e32 v3, 10, v38
	v_add_u16_e32 v0, 22, v20
	v_sub_u16_e32 v2, v2, v3
	v_lshlrev_b32_sdwa v39, v1, v2 dst_sel:DWORD dst_unused:UNUSED_PAD src0_sel:DWORD src1_sel:BYTE_0
	global_load_dwordx2 v[32:33], v39, s[4:5]
	v_mul_lo_u16_sdwa v2, v0, s0 dst_sel:DWORD dst_unused:UNUSED_PAD src0_sel:BYTE_0 src1_sel:DWORD
	v_lshrrev_b16_e32 v40, 11, v2
	v_mul_lo_u16_e32 v2, 10, v40
	v_sub_u16_e32 v0, v0, v2
	v_lshlrev_b32_sdwa v41, v1, v0 dst_sel:DWORD dst_unused:UNUSED_PAD src0_sel:DWORD src1_sel:BYTE_0
	global_load_dwordx2 v[34:35], v41, s[4:5]
	s_movk_i32 s0, 0xffb8
	v_mad_i32_i24 v18, v20, s0, v54
	ds_read2_b64 v[6:9], v18 offset0:110 offset1:132
	v_lshl_add_u32 v4, v20, 3, v53
	ds_read2_b64 v[0:3], v18 offset0:154 offset1:176
	ds_read_b64 v[36:37], v4
	ds_read_b64 v[16:17], v18 offset:1584
	s_movk_i32 s0, 0xa0
	v_mad_u32_u24 v5, v5, s0, 0
	s_waitcnt lgkmcnt(3)
	v_mov_b32_e32 v12, v7
	v_add3_u32 v5, v5, v19, v52
	s_waitcnt vmcnt(4)
	v_pk_mul_f32 v[26:27], v[10:11], v[6:7] op_sel_hi:[1,0]
	s_nop 0
	v_pk_fma_f32 v[6:7], v[10:11], v[6:7], v[26:27] op_sel:[0,1,1] op_sel_hi:[1,1,0] neg_lo:[1,0,0] neg_hi:[1,0,0]
	v_pk_fma_f32 v[12:13], v[10:11], v[12:13], v[26:27] op_sel:[0,0,1] op_sel_hi:[1,1,0]
	v_mad_u32_u24 v6, v40, s0, 0
	v_mov_b32_e32 v13, v7
	v_add3_u32 v19, v6, v41, v52
	v_mad_u32_u24 v6, v38, s0, 0
	s_waitcnt lgkmcnt(1)
	v_pk_add_f32 v[26:27], v[36:37], v[12:13] op_sel:[1,0] op_sel_hi:[0,1] neg_lo:[0,1] neg_hi:[0,1]
	v_add3_u32 v38, v6, v39, v52
	v_mad_u32_u24 v6, v30, s0, 0
	ds_read2_b64 v[10:13], v18 offset0:66 offset1:88
	v_add3_u32 v39, v6, v31, v52
	v_mad_u32_u24 v6, v28, s0, 0
	v_add3_u32 v40, v6, v29, v52
	s_waitcnt vmcnt(3) lgkmcnt(1)
	v_pk_mul_f32 v[6:7], v[14:15], v[16:17] op_sel:[0,1]
	v_cmp_gt_u32_e64 s[0:1], 20, v20
	v_pk_fma_f32 v[28:29], v[14:15], v[16:17], v[6:7] op_sel:[0,0,1] op_sel_hi:[1,1,0] neg_lo:[0,0,1] neg_hi:[0,0,1]
	v_pk_fma_f32 v[6:7], v[14:15], v[16:17], v[6:7] op_sel:[0,0,1] op_sel_hi:[1,0,0]
	s_nop 0
	v_mov_b32_e32 v29, v7
	s_waitcnt lgkmcnt(0)
	v_pk_add_f32 v[16:17], v[12:13], v[28:29] neg_lo:[0,1] neg_hi:[0,1]
	s_waitcnt vmcnt(2)
	v_pk_mul_f32 v[6:7], v[24:25], v[2:3] op_sel:[0,1]
	v_pk_fma_f32 v[14:15], v[12:13], 2.0, v[16:17] op_sel_hi:[1,0,1] neg_lo:[0,0,1] neg_hi:[0,0,1]
	v_pk_fma_f32 v[12:13], v[24:25], v[2:3], v[6:7] op_sel:[0,0,1] op_sel_hi:[1,1,0] neg_lo:[0,0,1] neg_hi:[0,0,1]
	v_pk_fma_f32 v[2:3], v[24:25], v[2:3], v[6:7] op_sel:[0,0,1] op_sel_hi:[1,0,0]
	ds_read2_b64 v[28:31], v18 offset0:22 offset1:44
	v_mov_b32_e32 v13, v3
	v_pk_add_f32 v[12:13], v[10:11], v[12:13] neg_lo:[0,1] neg_hi:[0,1]
	s_waitcnt vmcnt(1)
	v_pk_mul_f32 v[6:7], v[32:33], v[0:1] op_sel:[0,1]
	v_pk_fma_f32 v[2:3], v[10:11], 2.0, v[12:13] op_sel_hi:[1,0,1] neg_lo:[0,0,1] neg_hi:[0,0,1]
	v_pk_fma_f32 v[10:11], v[32:33], v[0:1], v[6:7] op_sel:[0,0,1] op_sel_hi:[1,1,0] neg_lo:[0,0,1] neg_hi:[0,0,1]
	v_pk_fma_f32 v[0:1], v[32:33], v[0:1], v[6:7] op_sel:[0,0,1] op_sel_hi:[1,0,0]
	s_waitcnt vmcnt(0)
	v_pk_mul_f32 v[6:7], v[34:35], v[8:9] op_sel:[0,1]
	v_mov_b32_e32 v11, v1
	v_pk_fma_f32 v[24:25], v[34:35], v[8:9], v[6:7] op_sel:[0,0,1] op_sel_hi:[1,1,0] neg_lo:[0,0,1] neg_hi:[0,0,1]
	v_pk_fma_f32 v[6:7], v[34:35], v[8:9], v[6:7] op_sel:[0,0,1] op_sel_hi:[1,0,0]
	s_waitcnt lgkmcnt(0)
	v_pk_add_f32 v[0:1], v[30:31], v[10:11] neg_lo:[0,1] neg_hi:[0,1]
	v_mov_b32_e32 v25, v7
	v_pk_add_f32 v[8:9], v[28:29], v[24:25] neg_lo:[0,1] neg_hi:[0,1]
	v_pk_fma_f32 v[10:11], v[30:31], 2.0, v[0:1] op_sel_hi:[1,0,1] neg_lo:[0,0,1] neg_hi:[0,0,1]
	v_pk_fma_f32 v[6:7], v[28:29], 2.0, v[8:9] op_sel_hi:[1,0,1] neg_lo:[0,0,1] neg_hi:[0,0,1]
	v_pk_fma_f32 v[24:25], v[36:37], 2.0, v[26:27] op_sel:[0,0,1] op_sel_hi:[1,0,0] neg_lo:[0,0,1] neg_hi:[0,0,1]
	v_mov_b32_e32 v28, v27
	v_mov_b32_e32 v29, v26
	s_barrier
	ds_write2_b64 v5, v[24:25], v[28:29] offset1:10
	ds_write2_b64 v19, v[6:7], v[8:9] offset1:10
	;; [unrolled: 1-line block ×5, first 2 shown]
	s_waitcnt lgkmcnt(0)
	s_barrier
	s_and_saveexec_b64 s[2:3], s[0:1]
	s_cbranch_execnz .LBB0_13
; %bb.11:
	s_or_b64 exec, exec, s[2:3]
	s_and_b64 s[0:1], vcc, s[0:1]
	s_and_saveexec_b64 s[2:3], s[0:1]
	s_cbranch_execnz .LBB0_14
.LBB0_12:
	s_endpgm
.LBB0_13:
	ds_read_b64 v[24:25], v4
	ds_read2_b64 v[4:7], v18 offset0:20 offset1:40
	ds_read2_b64 v[8:11], v18 offset0:60 offset1:80
	ds_read2_b64 v[0:3], v18 offset0:100 offset1:120
	ds_read2_b64 v[12:15], v18 offset0:140 offset1:160
	ds_read2_b64 v[16:19], v18 offset0:180 offset1:200
	s_waitcnt lgkmcnt(4)
	v_mov_b32_e32 v26, v5
	v_mov_b32_e32 v27, v4
	s_or_b64 exec, exec, s[2:3]
	s_and_b64 s[0:1], vcc, s[0:1]
	s_and_saveexec_b64 s[2:3], s[0:1]
	s_cbranch_execz .LBB0_12
.LBB0_14:
	v_lshlrev_b32_e32 v4, 3, v21
	global_load_dwordx4 v[28:31], v4, s[4:5] offset:144
	global_load_dwordx4 v[32:35], v4, s[4:5] offset:128
	;; [unrolled: 1-line block ×5, first 2 shown]
	v_mov_b32_e32 v21, 0
	s_waitcnt lgkmcnt(0)
	v_mov_b32_e32 v50, v19
	v_mov_b32_e32 v56, v15
	v_mov_b32_e32 v60, v9
	v_mov_b32_e32 v52, v17
	v_mov_b32_e32 v58, v13
	v_mov_b32_e32 v62, v11
	v_lshl_add_u64 v[4:5], v[20:21], 3, v[22:23]
	v_mov_b32_e32 v48, v27
	v_mov_b32_e32 v54, v7
	;; [unrolled: 1-line block ×4, first 2 shown]
	s_mov_b32 s10, 0x3f575c64
	s_mov_b32 s11, 0xbf0a6770
	s_mov_b32 s0, s11
	s_mov_b32 s1, s10
	s_mov_b32 s15, 0xbf68dda4
	s_mov_b32 s14, 0x3ed4b147
	s_mov_b32 s2, s15
	s_mov_b32 s3, s14
	s_mov_b32 s18, 0xbe11bafb
	s_mov_b32 s19, 0xbf7d64f0
	s_mov_b32 s4, s19
	s_mov_b32 s5, s18
	s_mov_b32 s22, 0xbf27a4f4
	s_mov_b32 s23, 0xbf4178ce
	s_mov_b32 s6, s23
	s_mov_b32 s7, s22
	s_mov_b32 s26, 0xbf75a155
	s_mov_b32 s27, 0xbe903f40
	s_mov_b32 s8, s27
	s_mov_b32 s9, s26
	s_mov_b32 s25, 0x3e903f40
	s_mov_b32 s24, s26
	s_mov_b32 s12, s25
	s_mov_b32 s13, s26
	s_mov_b32 s29, 0x3f7d64f0
	s_mov_b32 s28, s18
	s_mov_b32 s16, s29
	s_mov_b32 s17, s18
	s_mov_b32 s31, 0x3f0a6770
	s_mov_b32 s30, s10
	s_mov_b32 s20, s31
	s_mov_b32 s21, s10
	s_waitcnt vmcnt(4)
	v_pk_mul_f32 v[20:21], v[50:51], v[30:31] op_sel_hi:[0,1]
	s_waitcnt vmcnt(3)
	v_pk_mul_f32 v[50:51], v[56:57], v[34:35] op_sel_hi:[0,1]
	;; [unrolled: 2-line block ×3, first 2 shown]
	v_pk_mul_f32 v[22:23], v[52:53], v[28:29] op_sel_hi:[0,1]
	v_pk_mul_f32 v[52:53], v[58:59], v[32:33] op_sel_hi:[0,1]
	;; [unrolled: 1-line block ×3, first 2 shown]
	s_waitcnt vmcnt(1)
	v_mov_b32_e32 v60, v41
	v_pk_mul_f32 v[62:63], v[26:27], v[40:41]
	v_pk_fma_f32 v[68:69], v[18:19], v[30:31], v[20:21] op_sel:[0,0,1] op_sel_hi:[0,1,0] neg_lo:[0,0,1] neg_hi:[0,0,1]
	v_pk_fma_f32 v[18:19], v[18:19], v[30:31], v[20:21] op_sel:[0,0,1] op_sel_hi:[0,1,0]
	v_pk_fma_f32 v[30:31], v[8:9], v[36:37], v[56:57] op_sel:[0,0,1] op_sel_hi:[1,1,0] neg_lo:[0,0,1] neg_hi:[0,0,1]
	v_pk_fma_f32 v[8:9], v[8:9], v[36:37], v[56:57] op_sel:[0,0,1] op_sel_hi:[0,1,0]
	;; [unrolled: 2-line block ×4, first 2 shown]
	v_pk_mul_f32 v[34:35], v[26:27], v[60:61]
	v_mov_b32_e32 v8, v63
	v_pk_mul_f32 v[54:55], v[54:55], v[42:43] op_sel_hi:[0,1]
	v_pk_fma_f32 v[28:29], v[12:13], v[32:33], v[52:53] op_sel:[0,0,1] op_sel_hi:[1,1,0] neg_lo:[0,0,1] neg_hi:[0,0,1]
	v_pk_fma_f32 v[12:13], v[12:13], v[32:33], v[52:53] op_sel:[0,0,1] op_sel_hi:[0,1,0]
	v_pk_fma_f32 v[34:35], v[48:49], v[40:41], v[34:35] neg_lo:[0,0,1] neg_hi:[0,0,1]
	v_pk_fma_f32 v[26:27], v[26:27], v[40:41], v[8:9]
	v_pk_fma_f32 v[36:37], v[6:7], v[42:43], v[54:55] op_sel:[0,0,1] op_sel_hi:[1,1,0] neg_lo:[0,0,1] neg_hi:[0,0,1]
	v_pk_fma_f32 v[6:7], v[6:7], v[42:43], v[54:55] op_sel:[0,0,1] op_sel_hi:[0,1,0]
	v_mov_b32_e32 v29, v13
	v_pk_add_f32 v[12:13], v[34:35], v[68:69] neg_lo:[0,1] neg_hi:[0,1]
	v_pk_add_f32 v[52:53], v[34:35], v[68:69]
	v_mov_b32_e32 v35, v26
	v_mov_b32_e32 v37, v7
	;; [unrolled: 1-line block ×3, first 2 shown]
	v_pk_add_f32 v[14:15], v[24:25], v[34:35]
	s_waitcnt vmcnt(0)
	v_pk_mul_f32 v[66:67], v[66:67], v[44:45] op_sel_hi:[0,1]
	v_pk_fma_f32 v[32:33], v[10:11], v[38:39], v[58:59] op_sel:[0,0,1] op_sel_hi:[1,1,0] neg_lo:[0,0,1] neg_hi:[0,0,1]
	v_pk_fma_f32 v[10:11], v[10:11], v[38:39], v[58:59] op_sel:[0,0,1] op_sel_hi:[0,1,0]
	v_mov_b32_e32 v31, v9
	v_pk_add_f32 v[14:15], v[14:15], v[36:37]
	v_pk_mul_f32 v[64:65], v[64:65], v[46:47] op_sel_hi:[0,1]
	v_pk_fma_f32 v[42:43], v[0:1], v[44:45], v[66:67] op_sel:[0,0,1] op_sel_hi:[1,1,0] neg_lo:[0,0,1] neg_hi:[0,0,1]
	v_pk_fma_f32 v[0:1], v[0:1], v[44:45], v[66:67] op_sel:[0,0,1] op_sel_hi:[0,1,0]
	v_mov_b32_e32 v21, v17
	v_mov_b32_e32 v33, v11
	v_pk_add_f32 v[16:17], v[14:15], v[30:31]
	v_pk_fma_f32 v[38:39], v[2:3], v[46:47], v[64:65] op_sel:[0,0,1] op_sel_hi:[1,1,0] neg_lo:[0,0,1] neg_hi:[0,0,1]
	v_pk_fma_f32 v[2:3], v[2:3], v[46:47], v[64:65] op_sel:[0,0,1] op_sel_hi:[0,1,0]
	v_mov_b32_e32 v43, v1
	v_pk_add_f32 v[16:17], v[16:17], v[32:33]
	v_mov_b32_e32 v39, v3
	v_pk_add_f32 v[16:17], v[16:17], v[42:43]
	;; [unrolled: 2-line block ×4, first 2 shown]
	v_pk_add_f32 v[54:55], v[26:27], v[10:11] neg_lo:[0,1] neg_hi:[0,1]
	v_pk_add_f32 v[10:11], v[10:11], v[18:19]
	v_mov_b32_e32 v53, v12
	v_pk_add_f32 v[16:17], v[22:23], v[16:17]
	v_mov_b32_e32 v40, v68
	v_mov_b32_e32 v41, v19
	v_pk_add_f32 v[44:45], v[36:37], v[20:21] neg_lo:[0,1] neg_hi:[0,1]
	v_pk_add_f32 v[8:9], v[36:37], v[20:21]
	v_pk_mul_f32 v[12:13], v[52:53], s[10:11]
	v_mov_b32_e32 v10, v54
	v_pk_add_f32 v[16:17], v[20:21], v[16:17]
	v_pk_fma_f32 v[18:19], v[54:55], s[0:1], v[12:13] neg_lo:[1,0,0] neg_hi:[1,0,0]
	v_pk_fma_f32 v[14:15], v[10:11], s[0:1], v[12:13]
	v_pk_add_f32 v[16:17], v[40:41], v[16:17]
	v_mov_b32_e32 v34, v8
	v_mov_b32_e32 v35, v44
	global_store_dwordx2 v[4:5], v[16:17], off
	v_mov_b32_e32 v19, v15
	v_pk_mul_f32 v[16:17], v[34:35], s[14:15]
	v_mov_b32_e32 v8, v45
	v_pk_add_f32 v[46:47], v[30:31], v[22:23] neg_lo:[0,1] neg_hi:[0,1]
	v_pk_add_f32 v[6:7], v[30:31], v[22:23]
	v_pk_add_f32 v[20:21], v[24:25], v[18:19]
	v_pk_fma_f32 v[22:23], v[8:9], s[2:3], v[16:17] neg_lo:[1,0,0] neg_hi:[1,0,0]
	v_pk_fma_f32 v[18:19], v[8:9], s[2:3], v[16:17]
	v_mov_b32_e32 v36, v6
	v_mov_b32_e32 v23, v19
	;; [unrolled: 1-line block ×3, first 2 shown]
	v_pk_add_f32 v[26:27], v[20:21], v[22:23]
	v_pk_mul_f32 v[20:21], v[36:37], s[18:19]
	v_mov_b32_e32 v6, v47
	v_pk_add_f32 v[48:49], v[32:33], v[28:29] neg_lo:[0,1] neg_hi:[0,1]
	v_pk_add_f32 v[2:3], v[32:33], v[28:29]
	v_pk_fma_f32 v[28:29], v[6:7], s[4:5], v[20:21] neg_lo:[1,0,0] neg_hi:[1,0,0]
	v_pk_fma_f32 v[22:23], v[6:7], s[4:5], v[20:21]
	v_pk_add_f32 v[50:51], v[42:43], v[38:39] neg_lo:[0,1] neg_hi:[0,1]
	v_pk_add_f32 v[0:1], v[42:43], v[38:39]
	v_mov_b32_e32 v29, v23
	v_mov_b32_e32 v38, v2
	;; [unrolled: 1-line block ×3, first 2 shown]
	v_pk_add_f32 v[30:31], v[26:27], v[28:29]
	v_pk_mul_f32 v[26:27], v[38:39], s[22:23]
	v_mov_b32_e32 v2, v49
	v_pk_fma_f32 v[32:33], v[2:3], s[6:7], v[26:27] neg_lo:[1,0,0] neg_hi:[1,0,0]
	v_pk_fma_f32 v[28:29], v[2:3], s[6:7], v[26:27]
	v_mov_b32_e32 v42, v0
	v_mov_b32_e32 v33, v29
	;; [unrolled: 1-line block ×3, first 2 shown]
	v_pk_add_f32 v[40:41], v[30:31], v[32:33]
	v_pk_mul_f32 v[30:31], v[42:43], s[26:27]
	v_mov_b32_e32 v0, v51
	v_pk_fma_f32 v[44:45], v[0:1], s[8:9], v[30:31] neg_lo:[1,0,0] neg_hi:[1,0,0]
	v_pk_fma_f32 v[32:33], v[0:1], s[8:9], v[30:31]
	v_pk_mul_f32 v[48:49], v[34:35], s[22:23]
	v_mov_b32_e32 v45, v33
	v_pk_add_f32 v[40:41], v[40:41], v[44:45]
	global_store_dwordx2 v[4:5], v[40:41], off offset:160
	v_pk_mul_f32 v[40:41], v[52:53], s[14:15]
	v_pk_fma_f32 v[50:51], v[8:9], s[6:7], v[48:49] neg_lo:[1,0,0] neg_hi:[1,0,0]
	v_pk_fma_f32 v[44:45], v[54:55], s[2:3], v[40:41] neg_lo:[1,0,0] neg_hi:[1,0,0]
	v_pk_fma_f32 v[46:47], v[10:11], s[2:3], v[40:41]
	v_pk_fma_f32 v[56:57], v[8:9], s[6:7], v[48:49]
	v_mov_b32_e32 v45, v47
	v_pk_add_f32 v[44:45], v[24:25], v[44:45]
	v_mov_b32_e32 v51, v57
	v_pk_add_f32 v[44:45], v[44:45], v[50:51]
	v_pk_mul_f32 v[50:51], v[36:37], s[24:25]
	v_pk_mul_f32 v[72:73], v[34:35], s[24:25]
	v_pk_fma_f32 v[58:59], v[6:7], s[12:13], v[50:51] neg_lo:[1,0,0] neg_hi:[1,0,0]
	v_pk_fma_f32 v[60:61], v[6:7], s[12:13], v[50:51]
	v_pk_fma_f32 v[74:75], v[8:9], s[12:13], v[72:73] neg_lo:[1,0,0] neg_hi:[1,0,0]
	v_mov_b32_e32 v59, v61
	v_pk_add_f32 v[44:45], v[44:45], v[58:59]
	v_pk_mul_f32 v[58:59], v[38:39], s[28:29]
	v_pk_fma_f32 v[76:77], v[8:9], s[12:13], v[72:73]
	v_pk_fma_f32 v[62:63], v[2:3], s[16:17], v[58:59] neg_lo:[1,0,0] neg_hi:[1,0,0]
	v_pk_fma_f32 v[64:65], v[2:3], s[16:17], v[58:59]
	v_mov_b32_e32 v75, v77
	v_mov_b32_e32 v63, v65
	v_pk_add_f32 v[44:45], v[44:45], v[62:63]
	v_pk_mul_f32 v[62:63], v[42:43], s[30:31]
	s_mov_b32 s15, 0x3f68dda4
	v_pk_fma_f32 v[66:67], v[0:1], s[20:21], v[62:63] neg_lo:[1,0,0] neg_hi:[1,0,0]
	v_pk_fma_f32 v[68:69], v[0:1], s[20:21], v[62:63]
	s_mov_b32 s24, s15
	v_mov_b32_e32 v67, v69
	v_pk_add_f32 v[44:45], v[44:45], v[66:67]
	global_store_dwordx2 v[4:5], v[44:45], off offset:320
	v_pk_mul_f32 v[44:45], v[52:53], s[18:19]
	s_mov_b32 s25, s14
	v_pk_fma_f32 v[66:67], v[54:55], s[4:5], v[44:45] neg_lo:[1,0,0] neg_hi:[1,0,0]
	v_pk_fma_f32 v[70:71], v[10:11], s[4:5], v[44:45]
	v_pk_mul_f32 v[92:93], v[34:35], s[28:29]
	v_mov_b32_e32 v67, v71
	v_pk_add_f32 v[66:67], v[24:25], v[66:67]
	v_pk_fma_f32 v[94:95], v[8:9], s[16:17], v[92:93] neg_lo:[1,0,0] neg_hi:[1,0,0]
	v_pk_add_f32 v[66:67], v[66:67], v[74:75]
	v_pk_mul_f32 v[74:75], v[36:37], s[14:15]
	v_pk_fma_f32 v[96:97], v[8:9], s[16:17], v[92:93]
	v_pk_fma_f32 v[78:79], v[6:7], s[24:25], v[74:75] neg_lo:[1,0,0] neg_hi:[1,0,0]
	v_pk_fma_f32 v[80:81], v[6:7], s[24:25], v[74:75]
	v_mov_b32_e32 v95, v97
	v_mov_b32_e32 v79, v81
	v_pk_add_f32 v[66:67], v[66:67], v[78:79]
	v_pk_mul_f32 v[78:79], v[38:39], s[10:11]
	v_pk_mul_f32 v[34:35], v[34:35], s[30:31]
	v_pk_fma_f32 v[82:83], v[2:3], s[0:1], v[78:79] neg_lo:[1,0,0] neg_hi:[1,0,0]
	v_pk_fma_f32 v[84:85], v[2:3], s[0:1], v[78:79]
	v_pk_fma_f32 v[110:111], v[8:9], s[20:21], v[34:35]
	v_mov_b32_e32 v83, v85
	v_pk_add_f32 v[66:67], v[66:67], v[82:83]
	v_pk_mul_f32 v[82:83], v[42:43], s[22:23]
	s_nop 0
	v_pk_fma_f32 v[86:87], v[0:1], s[6:7], v[82:83] neg_lo:[1,0,0] neg_hi:[1,0,0]
	v_pk_fma_f32 v[88:89], v[0:1], s[6:7], v[82:83]
	s_nop 0
	v_mov_b32_e32 v87, v89
	v_pk_add_f32 v[66:67], v[66:67], v[86:87]
	global_store_dwordx2 v[4:5], v[66:67], off offset:480
	v_pk_mul_f32 v[66:67], v[52:53], s[22:23]
	v_pk_mul_f32 v[52:53], v[52:53], s[26:27]
	v_pk_fma_f32 v[86:87], v[54:55], s[6:7], v[66:67] neg_lo:[1,0,0] neg_hi:[1,0,0]
	v_pk_fma_f32 v[90:91], v[10:11], s[6:7], v[66:67]
	v_pk_fma_f32 v[54:55], v[54:55], s[8:9], v[52:53] neg_lo:[1,0,0] neg_hi:[1,0,0]
	v_mov_b32_e32 v87, v91
	v_pk_add_f32 v[86:87], v[24:25], v[86:87]
	s_nop 0
	v_pk_add_f32 v[86:87], v[86:87], v[94:95]
	v_pk_mul_f32 v[94:95], v[36:37], s[10:11]
	v_pk_mul_f32 v[36:37], v[36:37], s[22:23]
	v_pk_fma_f32 v[98:99], v[6:7], s[0:1], v[94:95] neg_lo:[1,0,0] neg_hi:[1,0,0]
	v_pk_fma_f32 v[100:101], v[6:7], s[0:1], v[94:95]
	v_pk_fma_f32 v[112:113], v[6:7], s[6:7], v[36:37]
	v_mov_b32_e32 v99, v101
	v_pk_add_f32 v[86:87], v[86:87], v[98:99]
	v_pk_mul_f32 v[98:99], v[38:39], s[26:27]
	v_pk_mul_f32 v[38:39], v[38:39], s[14:15]
	v_pk_fma_f32 v[102:103], v[2:3], s[8:9], v[98:99] neg_lo:[1,0,0] neg_hi:[1,0,0]
	v_pk_fma_f32 v[104:105], v[2:3], s[8:9], v[98:99]
	v_pk_fma_f32 v[114:115], v[2:3], s[24:25], v[38:39]
	v_mov_b32_e32 v103, v105
	;; [unrolled: 7-line block ×3, first 2 shown]
	v_pk_add_f32 v[86:87], v[86:87], v[106:107]
	global_store_dwordx2 v[4:5], v[86:87], off offset:640
	v_pk_fma_f32 v[86:87], v[10:11], s[8:9], v[52:53]
	v_pk_fma_f32 v[106:107], v[8:9], s[20:21], v[34:35] neg_lo:[1,0,0] neg_hi:[1,0,0]
	v_mov_b32_e32 v55, v87
	v_pk_add_f32 v[54:55], v[24:25], v[54:55]
	v_mov_b32_e32 v107, v111
	v_pk_add_f32 v[54:55], v[54:55], v[106:107]
	v_pk_fma_f32 v[106:107], v[6:7], s[6:7], v[36:37] neg_lo:[1,0,0] neg_hi:[1,0,0]
	v_pk_fma_f32 v[52:53], v[10:11], s[8:9], v[52:53] neg_lo:[0,0,1] neg_hi:[0,0,1]
	v_mov_b32_e32 v107, v113
	v_mov_b32_e32 v87, v53
	v_pk_fma_f32 v[34:35], v[8:9], s[20:21], v[34:35] neg_lo:[0,0,1] neg_hi:[0,0,1]
	v_pk_add_f32 v[54:55], v[54:55], v[106:107]
	v_pk_fma_f32 v[106:107], v[2:3], s[24:25], v[38:39] neg_lo:[1,0,0] neg_hi:[1,0,0]
	v_mov_b32_e32 v111, v35
	v_pk_add_f32 v[34:35], v[24:25], v[86:87]
	v_pk_fma_f32 v[36:37], v[6:7], s[6:7], v[36:37] neg_lo:[0,0,1] neg_hi:[0,0,1]
	v_mov_b32_e32 v107, v115
	v_pk_add_f32 v[34:35], v[34:35], v[110:111]
	v_mov_b32_e32 v113, v37
	v_pk_fma_f32 v[36:37], v[2:3], s[24:25], v[38:39] neg_lo:[0,0,1] neg_hi:[0,0,1]
	v_pk_add_f32 v[54:55], v[54:55], v[106:107]
	v_pk_fma_f32 v[106:107], v[0:1], s[4:5], v[42:43] neg_lo:[1,0,0] neg_hi:[1,0,0]
	v_pk_add_f32 v[34:35], v[34:35], v[112:113]
	v_mov_b32_e32 v115, v37
	v_pk_fma_f32 v[36:37], v[0:1], s[4:5], v[42:43] neg_lo:[0,0,1] neg_hi:[0,0,1]
	v_mov_b32_e32 v107, v117
	v_pk_add_f32 v[34:35], v[34:35], v[114:115]
	v_mov_b32_e32 v117, v37
	v_pk_add_f32 v[34:35], v[34:35], v[116:117]
	global_store_dwordx2 v[4:5], v[34:35], off offset:960
	v_pk_fma_f32 v[34:35], v[10:11], s[6:7], v[66:67] neg_lo:[0,0,1] neg_hi:[0,0,1]
	v_pk_fma_f32 v[36:37], v[6:7], s[0:1], v[94:95] neg_lo:[0,0,1] neg_hi:[0,0,1]
	v_mov_b32_e32 v91, v35
	v_pk_fma_f32 v[34:35], v[8:9], s[16:17], v[92:93] neg_lo:[0,0,1] neg_hi:[0,0,1]
	v_mov_b32_e32 v101, v37
	v_mov_b32_e32 v97, v35
	v_pk_add_f32 v[34:35], v[24:25], v[90:91]
	v_pk_fma_f32 v[36:37], v[2:3], s[8:9], v[98:99] neg_lo:[0,0,1] neg_hi:[0,0,1]
	v_pk_add_f32 v[34:35], v[34:35], v[96:97]
	v_mov_b32_e32 v105, v37
	v_pk_add_f32 v[34:35], v[34:35], v[100:101]
	v_pk_fma_f32 v[36:37], v[0:1], s[24:25], v[102:103] neg_lo:[0,0,1] neg_hi:[0,0,1]
	v_pk_add_f32 v[34:35], v[34:35], v[104:105]
	v_mov_b32_e32 v109, v37
	v_pk_add_f32 v[34:35], v[34:35], v[108:109]
	global_store_dwordx2 v[4:5], v[34:35], off offset:1120
	v_pk_fma_f32 v[34:35], v[10:11], s[4:5], v[44:45] neg_lo:[0,0,1] neg_hi:[0,0,1]
	v_pk_fma_f32 v[36:37], v[6:7], s[24:25], v[74:75] neg_lo:[0,0,1] neg_hi:[0,0,1]
	v_mov_b32_e32 v71, v35
	v_pk_fma_f32 v[34:35], v[8:9], s[12:13], v[72:73] neg_lo:[0,0,1] neg_hi:[0,0,1]
	v_mov_b32_e32 v81, v37
	v_mov_b32_e32 v77, v35
	v_pk_add_f32 v[34:35], v[24:25], v[70:71]
	v_pk_fma_f32 v[36:37], v[2:3], s[0:1], v[78:79] neg_lo:[0,0,1] neg_hi:[0,0,1]
	v_pk_add_f32 v[34:35], v[34:35], v[76:77]
	v_mov_b32_e32 v85, v37
	v_pk_add_f32 v[34:35], v[34:35], v[80:81]
	v_pk_fma_f32 v[36:37], v[0:1], s[6:7], v[82:83] neg_lo:[0,0,1] neg_hi:[0,0,1]
	v_pk_add_f32 v[34:35], v[34:35], v[84:85]
	v_mov_b32_e32 v89, v37
	v_pk_add_f32 v[34:35], v[34:35], v[88:89]
	global_store_dwordx2 v[4:5], v[34:35], off offset:1280
	v_pk_fma_f32 v[34:35], v[10:11], s[2:3], v[40:41] neg_lo:[0,0,1] neg_hi:[0,0,1]
	v_pk_fma_f32 v[10:11], v[10:11], s[0:1], v[12:13] neg_lo:[0,0,1] neg_hi:[0,0,1]
	v_mov_b32_e32 v47, v35
	v_pk_fma_f32 v[36:37], v[8:9], s[6:7], v[48:49] neg_lo:[0,0,1] neg_hi:[0,0,1]
	v_mov_b32_e32 v15, v11
	v_pk_fma_f32 v[8:9], v[8:9], s[2:3], v[16:17] neg_lo:[0,0,1] neg_hi:[0,0,1]
	v_pk_add_f32 v[34:35], v[24:25], v[46:47]
	v_mov_b32_e32 v57, v37
	v_pk_fma_f32 v[36:37], v[6:7], s[12:13], v[50:51] neg_lo:[0,0,1] neg_hi:[0,0,1]
	v_pk_add_f32 v[10:11], v[24:25], v[14:15]
	;; [unrolled: 3-line block ×7, first 2 shown]
	v_mov_b32_e32 v69, v37
	v_pk_add_f32 v[2:3], v[6:7], v[28:29]
	v_mov_b32_e32 v33, v1
	v_pk_add_f32 v[54:55], v[54:55], v[106:107]
	v_pk_add_f32 v[34:35], v[34:35], v[68:69]
	;; [unrolled: 1-line block ×3, first 2 shown]
	global_store_dwordx2 v[4:5], v[54:55], off offset:800
	global_store_dwordx2 v[4:5], v[34:35], off offset:1440
	;; [unrolled: 1-line block ×3, first 2 shown]
	s_endpgm
	.section	.rodata,"a",@progbits
	.p2align	6, 0x0
	.amdhsa_kernel fft_rtc_fwd_len220_factors_10_2_11_wgs_110_tpt_22_sp_ip_CI_unitstride_sbrr_dirReg
		.amdhsa_group_segment_fixed_size 0
		.amdhsa_private_segment_fixed_size 0
		.amdhsa_kernarg_size 88
		.amdhsa_user_sgpr_count 2
		.amdhsa_user_sgpr_dispatch_ptr 0
		.amdhsa_user_sgpr_queue_ptr 0
		.amdhsa_user_sgpr_kernarg_segment_ptr 1
		.amdhsa_user_sgpr_dispatch_id 0
		.amdhsa_user_sgpr_kernarg_preload_length 0
		.amdhsa_user_sgpr_kernarg_preload_offset 0
		.amdhsa_user_sgpr_private_segment_size 0
		.amdhsa_uses_dynamic_stack 0
		.amdhsa_enable_private_segment 0
		.amdhsa_system_sgpr_workgroup_id_x 1
		.amdhsa_system_sgpr_workgroup_id_y 0
		.amdhsa_system_sgpr_workgroup_id_z 0
		.amdhsa_system_sgpr_workgroup_info 0
		.amdhsa_system_vgpr_workitem_id 0
		.amdhsa_next_free_vgpr 118
		.amdhsa_next_free_sgpr 32
		.amdhsa_accum_offset 120
		.amdhsa_reserve_vcc 1
		.amdhsa_float_round_mode_32 0
		.amdhsa_float_round_mode_16_64 0
		.amdhsa_float_denorm_mode_32 3
		.amdhsa_float_denorm_mode_16_64 3
		.amdhsa_dx10_clamp 1
		.amdhsa_ieee_mode 1
		.amdhsa_fp16_overflow 0
		.amdhsa_tg_split 0
		.amdhsa_exception_fp_ieee_invalid_op 0
		.amdhsa_exception_fp_denorm_src 0
		.amdhsa_exception_fp_ieee_div_zero 0
		.amdhsa_exception_fp_ieee_overflow 0
		.amdhsa_exception_fp_ieee_underflow 0
		.amdhsa_exception_fp_ieee_inexact 0
		.amdhsa_exception_int_div_zero 0
	.end_amdhsa_kernel
	.text
.Lfunc_end0:
	.size	fft_rtc_fwd_len220_factors_10_2_11_wgs_110_tpt_22_sp_ip_CI_unitstride_sbrr_dirReg, .Lfunc_end0-fft_rtc_fwd_len220_factors_10_2_11_wgs_110_tpt_22_sp_ip_CI_unitstride_sbrr_dirReg
                                        ; -- End function
	.section	.AMDGPU.csdata,"",@progbits
; Kernel info:
; codeLenInByte = 5392
; NumSgprs: 38
; NumVgprs: 118
; NumAgprs: 0
; TotalNumVgprs: 118
; ScratchSize: 0
; MemoryBound: 0
; FloatMode: 240
; IeeeMode: 1
; LDSByteSize: 0 bytes/workgroup (compile time only)
; SGPRBlocks: 4
; VGPRBlocks: 14
; NumSGPRsForWavesPerEU: 38
; NumVGPRsForWavesPerEU: 118
; AccumOffset: 120
; Occupancy: 4
; WaveLimiterHint : 1
; COMPUTE_PGM_RSRC2:SCRATCH_EN: 0
; COMPUTE_PGM_RSRC2:USER_SGPR: 2
; COMPUTE_PGM_RSRC2:TRAP_HANDLER: 0
; COMPUTE_PGM_RSRC2:TGID_X_EN: 1
; COMPUTE_PGM_RSRC2:TGID_Y_EN: 0
; COMPUTE_PGM_RSRC2:TGID_Z_EN: 0
; COMPUTE_PGM_RSRC2:TIDIG_COMP_CNT: 0
; COMPUTE_PGM_RSRC3_GFX90A:ACCUM_OFFSET: 29
; COMPUTE_PGM_RSRC3_GFX90A:TG_SPLIT: 0
	.text
	.p2alignl 6, 3212836864
	.fill 256, 4, 3212836864
	.type	__hip_cuid_8e4c60f4685e340c,@object ; @__hip_cuid_8e4c60f4685e340c
	.section	.bss,"aw",@nobits
	.globl	__hip_cuid_8e4c60f4685e340c
__hip_cuid_8e4c60f4685e340c:
	.byte	0                               ; 0x0
	.size	__hip_cuid_8e4c60f4685e340c, 1

	.ident	"AMD clang version 19.0.0git (https://github.com/RadeonOpenCompute/llvm-project roc-6.4.0 25133 c7fe45cf4b819c5991fe208aaa96edf142730f1d)"
	.section	".note.GNU-stack","",@progbits
	.addrsig
	.addrsig_sym __hip_cuid_8e4c60f4685e340c
	.amdgpu_metadata
---
amdhsa.kernels:
  - .agpr_count:     0
    .args:
      - .actual_access:  read_only
        .address_space:  global
        .offset:         0
        .size:           8
        .value_kind:     global_buffer
      - .offset:         8
        .size:           8
        .value_kind:     by_value
      - .actual_access:  read_only
        .address_space:  global
        .offset:         16
        .size:           8
        .value_kind:     global_buffer
      - .actual_access:  read_only
        .address_space:  global
        .offset:         24
        .size:           8
        .value_kind:     global_buffer
      - .offset:         32
        .size:           8
        .value_kind:     by_value
      - .actual_access:  read_only
        .address_space:  global
        .offset:         40
        .size:           8
        .value_kind:     global_buffer
      - .actual_access:  read_only
        .address_space:  global
        .offset:         48
        .size:           8
        .value_kind:     global_buffer
      - .offset:         56
        .size:           4
        .value_kind:     by_value
      - .actual_access:  read_only
        .address_space:  global
        .offset:         64
        .size:           8
        .value_kind:     global_buffer
      - .actual_access:  read_only
        .address_space:  global
        .offset:         72
        .size:           8
        .value_kind:     global_buffer
      - .address_space:  global
        .offset:         80
        .size:           8
        .value_kind:     global_buffer
    .group_segment_fixed_size: 0
    .kernarg_segment_align: 8
    .kernarg_segment_size: 88
    .language:       OpenCL C
    .language_version:
      - 2
      - 0
    .max_flat_workgroup_size: 110
    .name:           fft_rtc_fwd_len220_factors_10_2_11_wgs_110_tpt_22_sp_ip_CI_unitstride_sbrr_dirReg
    .private_segment_fixed_size: 0
    .sgpr_count:     38
    .sgpr_spill_count: 0
    .symbol:         fft_rtc_fwd_len220_factors_10_2_11_wgs_110_tpt_22_sp_ip_CI_unitstride_sbrr_dirReg.kd
    .uniform_work_group_size: 1
    .uses_dynamic_stack: false
    .vgpr_count:     118
    .vgpr_spill_count: 0
    .wavefront_size: 64
amdhsa.target:   amdgcn-amd-amdhsa--gfx950
amdhsa.version:
  - 1
  - 2
...

	.end_amdgpu_metadata
